;; amdgpu-corpus repo=ROCm/rocFFT kind=compiled arch=gfx906 opt=O3
	.text
	.amdgcn_target "amdgcn-amd-amdhsa--gfx906"
	.amdhsa_code_object_version 6
	.protected	bluestein_single_back_len48_dim1_half_op_CI_CI ; -- Begin function bluestein_single_back_len48_dim1_half_op_CI_CI
	.globl	bluestein_single_back_len48_dim1_half_op_CI_CI
	.p2align	8
	.type	bluestein_single_back_len48_dim1_half_op_CI_CI,@function
bluestein_single_back_len48_dim1_half_op_CI_CI: ; @bluestein_single_back_len48_dim1_half_op_CI_CI
; %bb.0:
	s_load_dwordx4 s[0:3], s[4:5], 0x28
	v_lshrrev_b32_e32 v1, 4, v0
	v_lshl_or_b32 v3, s6, 2, v1
	v_mov_b32_e32 v4, 0
	s_waitcnt lgkmcnt(0)
	v_cmp_gt_u64_e32 vcc, s[0:1], v[3:4]
	s_and_saveexec_b64 s[0:1], vcc
	s_cbranch_execz .LBB0_25
; %bb.1:
	s_load_dwordx2 s[12:13], s[4:5], 0x0
	s_load_dwordx2 s[6:7], s[4:5], 0x38
	v_and_b32_e32 v10, 15, v0
	v_mul_u32_u24_e32 v12, 48, v1
	v_cmp_lt_u32_e64 s[0:1], 11, v10
	v_cmp_gt_u32_e32 vcc, 12, v10
	v_lshlrev_b32_e32 v11, 2, v10
	v_or_b32_e32 v2, v12, v10
	s_and_saveexec_b64 s[8:9], vcc
	s_cbranch_execz .LBB0_3
; %bb.2:
	s_load_dwordx2 s[10:11], s[4:5], 0x18
	s_waitcnt lgkmcnt(0)
	s_load_dwordx4 s[16:19], s[10:11], 0x0
	s_waitcnt lgkmcnt(0)
	v_mad_u64_u32 v[0:1], s[10:11], s18, v3, 0
	v_mad_u64_u32 v[4:5], s[10:11], s16, v10, 0
	;; [unrolled: 1-line block ×4, first 2 shown]
	v_mov_b32_e32 v1, v6
	v_lshlrev_b64 v[0:1], 2, v[0:1]
	v_mov_b32_e32 v5, v7
	v_mov_b32_e32 v8, s3
	v_lshlrev_b64 v[4:5], 2, v[4:5]
	v_add_co_u32_e64 v0, s[2:3], s2, v0
	v_addc_co_u32_e64 v1, s[2:3], v8, v1, s[2:3]
	v_add_co_u32_e64 v0, s[2:3], v0, v4
	v_addc_co_u32_e64 v1, s[2:3], v1, v5, s[2:3]
	s_mul_i32 s2, s17, 48
	s_mul_hi_u32 s3, s16, 48
	s_add_i32 s10, s3, s2
	s_mul_i32 s11, s16, 48
	v_mov_b32_e32 v5, s10
	v_add_co_u32_e64 v4, s[2:3], s11, v0
	v_addc_co_u32_e64 v5, s[2:3], v1, v5, s[2:3]
	global_load_dword v6, v[0:1], off
	global_load_dword v7, v[4:5], off
	global_load_dword v8, v11, s[12:13]
	global_load_dword v9, v11, s[12:13] offset:48
	v_mov_b32_e32 v1, s10
	v_add_co_u32_e64 v0, s[2:3], s11, v4
	v_addc_co_u32_e64 v1, s[2:3], v5, v1, s[2:3]
	global_load_dword v4, v[0:1], off
	global_load_dword v5, v11, s[12:13] offset:96
	v_mov_b32_e32 v13, s10
	v_add_co_u32_e64 v0, s[2:3], s11, v0
	v_addc_co_u32_e64 v1, s[2:3], v1, v13, s[2:3]
	global_load_dword v13, v[0:1], off
	global_load_dword v14, v11, s[12:13] offset:144
	v_lshlrev_b32_e32 v0, 2, v2
	v_lshl_add_u32 v1, v12, 2, v11
	s_waitcnt vmcnt(7)
	v_lshrrev_b32_e32 v15, 16, v6
	s_waitcnt vmcnt(5)
	v_mul_f16_sdwa v16, v8, v6 dst_sel:DWORD dst_unused:UNUSED_PAD src0_sel:WORD_1 src1_sel:DWORD
	v_mul_f16_sdwa v17, v8, v15 dst_sel:DWORD dst_unused:UNUSED_PAD src0_sel:WORD_1 src1_sel:DWORD
	v_fma_f16 v15, v8, v15, -v16
	v_lshrrev_b32_e32 v16, 16, v7
	s_waitcnt vmcnt(4)
	v_mul_f16_sdwa v18, v9, v7 dst_sel:DWORD dst_unused:UNUSED_PAD src0_sel:WORD_1 src1_sel:DWORD
	v_fma_f16 v6, v8, v6, v17
	v_mul_f16_sdwa v8, v9, v16 dst_sel:DWORD dst_unused:UNUSED_PAD src0_sel:WORD_1 src1_sel:DWORD
	s_waitcnt vmcnt(3)
	v_lshrrev_b32_e32 v17, 16, v4
	v_fma_f16 v16, v9, v16, -v18
	s_waitcnt vmcnt(2)
	v_mul_f16_sdwa v18, v5, v4 dst_sel:DWORD dst_unused:UNUSED_PAD src0_sel:WORD_1 src1_sel:DWORD
	v_pack_b32_f16 v6, v6, v15
	v_fma_f16 v7, v9, v7, v8
	v_mul_f16_sdwa v8, v5, v17 dst_sel:DWORD dst_unused:UNUSED_PAD src0_sel:WORD_1 src1_sel:DWORD
	s_waitcnt vmcnt(1)
	v_lshrrev_b32_e32 v15, 16, v13
	v_fma_f16 v9, v5, v17, -v18
	s_waitcnt vmcnt(0)
	v_mul_f16_sdwa v17, v14, v13 dst_sel:DWORD dst_unused:UNUSED_PAD src0_sel:WORD_1 src1_sel:DWORD
	v_fma_f16 v4, v5, v4, v8
	v_mul_f16_sdwa v5, v14, v15 dst_sel:DWORD dst_unused:UNUSED_PAD src0_sel:WORD_1 src1_sel:DWORD
	ds_write_b32 v0, v6
	v_pack_b32_f16 v0, v7, v16
	v_fma_f16 v6, v14, v15, -v17
	v_pack_b32_f16 v4, v4, v9
	v_fma_f16 v5, v14, v13, v5
	ds_write2_b32 v1, v0, v4 offset0:12 offset1:24
	v_pack_b32_f16 v0, v5, v6
	ds_write_b32 v1, v0 offset:144
.LBB0_3:
	s_or_b64 exec, exec, s[8:9]
	v_lshlrev_b32_e32 v14, 2, v12
	s_waitcnt lgkmcnt(0)
	; wave barrier
	s_waitcnt lgkmcnt(0)
                                        ; implicit-def: $vgpr4
                                        ; implicit-def: $vgpr1
                                        ; implicit-def: $vgpr5
	s_and_saveexec_b64 s[2:3], vcc
	s_cbranch_execz .LBB0_5
; %bb.4:
	v_lshlrev_b32_e32 v4, 2, v2
	v_lshl_add_u32 v5, v10, 2, v14
	ds_read2_b32 v[0:1], v5 offset0:12 offset1:24
	ds_read_b32 v4, v4
	ds_read_b32 v5, v5 offset:144
.LBB0_5:
	s_or_b64 exec, exec, s[2:3]
	s_load_dwordx2 s[8:9], s[4:5], 0x20
	s_load_dwordx2 s[2:3], s[4:5], 0x8
	s_waitcnt lgkmcnt(0)
	v_pk_add_f16 v1, v4, v1 neg_lo:[0,1] neg_hi:[0,1]
	v_pk_add_f16 v6, v0, v5 neg_lo:[0,1] neg_hi:[0,1]
	v_pk_add_f16 v5, v1, v6 op_sel:[0,1] op_sel_hi:[1,0]
	v_pk_add_f16 v7, v1, v6 op_sel:[0,1] op_sel_hi:[1,0] neg_lo:[0,1] neg_hi:[0,1]
	v_lshrrev_b32_e32 v16, 16, v5
	s_waitcnt lgkmcnt(0)
	; wave barrier
	s_and_saveexec_b64 s[4:5], s[0:1]
	s_xor_b64 s[0:1], exec, s[4:5]
; %bb.6:
                                        ; implicit-def: $vgpr4
                                        ; implicit-def: $vgpr1
                                        ; implicit-def: $vgpr0
                                        ; implicit-def: $vgpr6
                                        ; implicit-def: $vgpr5
; %bb.7:
	s_andn2_saveexec_b64 s[0:1], s[0:1]
	s_cbranch_execz .LBB0_9
; %bb.8:
	v_pk_fma_f16 v4, v4, 2.0, v1 op_sel_hi:[1,0,1] neg_lo:[0,0,1] neg_hi:[0,0,1]
	v_pk_fma_f16 v0, v0, 2.0, v6 op_sel_hi:[1,0,1] neg_lo:[0,0,1] neg_hi:[0,0,1]
	s_mov_b32 s4, 0xffff
	v_pk_add_f16 v19, v4, v0 neg_lo:[0,1] neg_hi:[0,1]
	v_bfi_b32 v20, s4, v7, v5
	v_add_lshl_u32 v8, v12, v11, 2
	v_pk_fma_f16 v17, v4, 2.0, v19 op_sel_hi:[1,0,1] neg_lo:[0,0,1] neg_hi:[0,0,1]
	v_pk_fma_f16 v18, v1, 2.0, v20 op_sel_hi:[1,0,1] neg_lo:[0,0,1] neg_hi:[0,0,1]
	ds_write_b128 v8, v[17:20]
.LBB0_9:
	s_or_b64 exec, exec, s[0:1]
	v_and_b32_e32 v6, 3, v10
	v_lshlrev_b32_e32 v0, 3, v6
	s_load_dwordx4 s[8:11], s[8:9], 0x0
	s_waitcnt lgkmcnt(0)
	; wave barrier
	s_waitcnt lgkmcnt(0)
	global_load_dwordx2 v[4:5], v0, s[2:3]
	v_lshlrev_b32_e32 v13, 2, v2
	ds_read2_b32 v[0:1], v13 offset1:16
	ds_read_b32 v8, v13 offset:128
	v_lshrrev_b32_e32 v2, 2, v10
	v_mul_u32_u24_e32 v2, 12, v2
	v_or_b32_e32 v2, v2, v6
	s_waitcnt lgkmcnt(1)
	v_lshrrev_b32_e32 v6, 16, v1
	s_waitcnt lgkmcnt(0)
	v_lshrrev_b32_e32 v9, 16, v8
	v_add_lshl_u32 v15, v12, v2, 2
	v_lshrrev_b32_e32 v2, 16, v0
	s_movk_i32 s0, 0x3aee
	s_mov_b32 s1, 0xbaee
	s_waitcnt lgkmcnt(0)
	; wave barrier
	s_waitcnt vmcnt(0)
	v_mul_f16_sdwa v17, v6, v4 dst_sel:DWORD dst_unused:UNUSED_PAD src0_sel:DWORD src1_sel:WORD_1
	v_mul_f16_sdwa v18, v1, v4 dst_sel:DWORD dst_unused:UNUSED_PAD src0_sel:DWORD src1_sel:WORD_1
	;; [unrolled: 1-line block ×4, first 2 shown]
	v_fma_f16 v1, v1, v4, -v17
	v_fma_f16 v6, v6, v4, v18
	v_fma_f16 v8, v8, v5, -v19
	v_fma_f16 v9, v9, v5, v20
	v_add_f16_e32 v18, v1, v8
	v_sub_f16_e32 v19, v6, v9
	v_add_f16_e32 v20, v2, v6
	v_add_f16_e32 v6, v6, v9
	;; [unrolled: 1-line block ×3, first 2 shown]
	v_sub_f16_e32 v1, v1, v8
	v_fma_f16 v0, v18, -0.5, v0
	v_fma_f16 v2, v6, -0.5, v2
	v_add_f16_e32 v8, v17, v8
	v_add_f16_e32 v17, v20, v9
	v_fma_f16 v9, v19, s0, v0
	v_fma_f16 v18, v1, s1, v2
	;; [unrolled: 1-line block ×4, first 2 shown]
	v_pack_b32_f16 v0, v8, v17
	v_pack_b32_f16 v1, v9, v18
	;; [unrolled: 1-line block ×3, first 2 shown]
	ds_write2_b32 v15, v0, v1 offset1:4
	ds_write_b32 v15, v2 offset:32
	s_waitcnt lgkmcnt(0)
	; wave barrier
	s_waitcnt lgkmcnt(0)
	s_and_saveexec_b64 s[0:1], vcc
	s_cbranch_execz .LBB0_11
; %bb.10:
	ds_read2_b32 v[8:9], v13 offset1:12
	ds_read2_b32 v[6:7], v13 offset0:24 offset1:36
	s_waitcnt lgkmcnt(1)
	v_lshrrev_b32_e32 v17, 16, v8
	v_lshrrev_b32_e32 v18, 16, v9
	s_waitcnt lgkmcnt(0)
	v_lshrrev_b32_e32 v19, 16, v6
	v_lshrrev_b32_e32 v16, 16, v7
.LBB0_11:
	s_or_b64 exec, exec, s[0:1]
	v_add_u32_e32 v0, -12, v10
	v_cndmask_b32_e32 v0, v0, v10, vcc
	v_mul_hi_i32_i24_e32 v1, 12, v0
	v_mul_i32_i24_e32 v0, 12, v0
	v_mov_b32_e32 v2, s3
	v_add_co_u32_e64 v0, s[0:1], s2, v0
	v_addc_co_u32_e64 v1, s[0:1], v2, v1, s[0:1]
	global_load_dwordx3 v[0:2], v[0:1], off offset:32
	s_waitcnt vmcnt(0)
	v_mul_f16_sdwa v20, v18, v0 dst_sel:DWORD dst_unused:UNUSED_PAD src0_sel:DWORD src1_sel:WORD_1
	v_mul_f16_sdwa v21, v9, v0 dst_sel:DWORD dst_unused:UNUSED_PAD src0_sel:DWORD src1_sel:WORD_1
	;; [unrolled: 1-line block ×6, first 2 shown]
	v_fma_f16 v9, v9, v0, -v20
	v_fma_f16 v18, v18, v0, v21
	v_fma_f16 v6, v6, v1, -v22
	v_fma_f16 v19, v19, v1, v23
	;; [unrolled: 2-line block ×3, first 2 shown]
	v_sub_f16_e32 v6, v8, v6
	v_sub_f16_e32 v20, v17, v19
	;; [unrolled: 1-line block ×4, first 2 shown]
	v_fma_f16 v8, v8, 2.0, -v6
	v_fma_f16 v21, v17, 2.0, -v20
	;; [unrolled: 1-line block ×4, first 2 shown]
	v_sub_f16_e32 v17, v6, v16
	v_add_f16_e32 v18, v20, v7
	v_sub_f16_e32 v7, v8, v9
	v_sub_f16_e32 v19, v21, v19
	v_fma_f16 v6, v6, 2.0, -v17
	v_fma_f16 v8, v8, 2.0, -v7
	;; [unrolled: 1-line block ×4, first 2 shown]
	s_and_saveexec_b64 s[0:1], vcc
	s_cbranch_execz .LBB0_13
; %bb.12:
	s_mov_b32 s2, 0x5040100
	v_perm_b32 v20, v9, v8, s2
	ds_write_b32 v13, v20
	v_lshl_add_u32 v20, v10, 2, v14
	v_perm_b32 v21, v16, v6, s2
	v_perm_b32 v22, v19, v7, s2
	ds_write2_b32 v20, v21, v22 offset0:12 offset1:24
	v_perm_b32 v21, v18, v17, s2
	ds_write_b32 v20, v21 offset:144
.LBB0_13:
	s_or_b64 exec, exec, s[0:1]
	s_waitcnt lgkmcnt(0)
	; wave barrier
	s_waitcnt lgkmcnt(0)
	s_and_saveexec_b64 s[0:1], vcc
	s_cbranch_execz .LBB0_15
; %bb.14:
	global_load_dword v20, v11, s[12:13] offset:192
	s_add_u32 s2, s12, 0xc0
	s_addc_u32 s3, s13, 0
	global_load_dword v22, v11, s[2:3] offset:48
	global_load_dword v23, v11, s[2:3] offset:96
	;; [unrolled: 1-line block ×3, first 2 shown]
	ds_read_b32 v21, v13
	v_lshl_add_u32 v25, v12, 2, v11
	s_waitcnt lgkmcnt(0)
	v_lshrrev_b32_e32 v26, 16, v21
	s_waitcnt vmcnt(3)
	v_mul_f16_sdwa v27, v26, v20 dst_sel:DWORD dst_unused:UNUSED_PAD src0_sel:DWORD src1_sel:WORD_1
	v_mul_f16_sdwa v28, v21, v20 dst_sel:DWORD dst_unused:UNUSED_PAD src0_sel:DWORD src1_sel:WORD_1
	v_fma_f16 v21, v21, v20, -v27
	v_fma_f16 v20, v26, v20, v28
	v_pack_b32_f16 v20, v21, v20
	ds_write_b32 v13, v20
	ds_read2_b32 v[20:21], v25 offset0:12 offset1:24
	ds_read_b32 v26, v25 offset:144
	s_waitcnt lgkmcnt(1)
	v_lshrrev_b32_e32 v27, 16, v20
	s_waitcnt vmcnt(2)
	v_mul_f16_sdwa v28, v20, v22 dst_sel:DWORD dst_unused:UNUSED_PAD src0_sel:DWORD src1_sel:WORD_1
	v_lshrrev_b32_e32 v29, 16, v21
	s_waitcnt vmcnt(1)
	v_mul_f16_sdwa v30, v21, v23 dst_sel:DWORD dst_unused:UNUSED_PAD src0_sel:DWORD src1_sel:WORD_1
	s_waitcnt lgkmcnt(0)
	v_lshrrev_b32_e32 v31, 16, v26
	v_mul_f16_sdwa v33, v27, v22 dst_sel:DWORD dst_unused:UNUSED_PAD src0_sel:DWORD src1_sel:WORD_1
	v_fma_f16 v27, v27, v22, v28
	v_mul_f16_sdwa v28, v29, v23 dst_sel:DWORD dst_unused:UNUSED_PAD src0_sel:DWORD src1_sel:WORD_1
	s_waitcnt vmcnt(0)
	v_mul_f16_sdwa v32, v26, v24 dst_sel:DWORD dst_unused:UNUSED_PAD src0_sel:DWORD src1_sel:WORD_1
	v_fma_f16 v29, v29, v23, v30
	v_mul_f16_sdwa v30, v31, v24 dst_sel:DWORD dst_unused:UNUSED_PAD src0_sel:DWORD src1_sel:WORD_1
	v_fma_f16 v20, v20, v22, -v33
	v_fma_f16 v21, v21, v23, -v28
	v_fma_f16 v31, v31, v24, v32
	v_fma_f16 v22, v26, v24, -v30
	v_pack_b32_f16 v20, v20, v27
	v_pack_b32_f16 v21, v21, v29
	;; [unrolled: 1-line block ×3, first 2 shown]
	ds_write2_b32 v25, v20, v21 offset0:12 offset1:24
	ds_write_b32 v25, v22 offset:144
.LBB0_15:
	s_or_b64 exec, exec, s[0:1]
	s_waitcnt lgkmcnt(0)
	; wave barrier
	s_waitcnt lgkmcnt(0)
	s_and_saveexec_b64 s[0:1], vcc
	s_cbranch_execz .LBB0_17
; %bb.16:
	v_lshl_add_u32 v9, v10, 2, v14
	ds_read_b32 v8, v13
	ds_read2_b32 v[6:7], v9 offset0:12 offset1:24
	ds_read_b32 v17, v9 offset:144
	s_waitcnt lgkmcnt(2)
	v_lshrrev_b32_e32 v9, 16, v8
	s_waitcnt lgkmcnt(1)
	v_lshrrev_b32_e32 v16, 16, v6
	v_lshrrev_b32_e32 v19, 16, v7
	s_waitcnt lgkmcnt(0)
	v_lshrrev_b32_e32 v18, 16, v17
.LBB0_17:
	s_or_b64 exec, exec, s[0:1]
	v_sub_f16_e32 v20, v8, v7
	v_sub_f16_e32 v19, v9, v19
	;; [unrolled: 1-line block ×4, first 2 shown]
	v_add_f16_e32 v7, v18, v20
	v_sub_f16_e32 v17, v19, v21
	s_waitcnt lgkmcnt(0)
	; wave barrier
	s_and_saveexec_b64 s[0:1], vcc
	s_cbranch_execz .LBB0_19
; %bb.18:
	v_fma_f16 v8, v8, 2.0, -v20
	v_fma_f16 v6, v6, 2.0, -v21
	;; [unrolled: 1-line block ×4, first 2 shown]
	v_sub_f16_e32 v6, v8, v6
	v_sub_f16_e32 v16, v9, v16
	v_fma_f16 v22, v20, 2.0, -v7
	v_fma_f16 v23, v19, 2.0, -v17
	;; [unrolled: 1-line block ×4, first 2 shown]
	s_mov_b32 s2, 0x5040100
	v_add_lshl_u32 v24, v12, v11, 2
	v_pack_b32_f16 v20, v6, v16
	v_pack_b32_f16 v18, v8, v9
	;; [unrolled: 1-line block ×3, first 2 shown]
	v_perm_b32 v21, v17, v7, s2
	ds_write_b128 v24, v[18:21]
.LBB0_19:
	s_or_b64 exec, exec, s[0:1]
	s_waitcnt lgkmcnt(0)
	; wave barrier
	s_waitcnt lgkmcnt(0)
	ds_read2_b32 v[8:9], v13 offset1:16
	ds_read_b32 v6, v13 offset:128
	s_mov_b32 s0, 0xbaee
	s_movk_i32 s1, 0x3aee
	s_waitcnt lgkmcnt(0)
	v_lshrrev_b32_e32 v18, 16, v9
	v_mul_f16_sdwa v20, v4, v18 dst_sel:DWORD dst_unused:UNUSED_PAD src0_sel:WORD_1 src1_sel:DWORD
	v_lshrrev_b32_e32 v19, 16, v6
	v_fma_f16 v20, v4, v9, v20
	v_mul_f16_sdwa v9, v4, v9 dst_sel:DWORD dst_unused:UNUSED_PAD src0_sel:WORD_1 src1_sel:DWORD
	v_fma_f16 v9, v4, v18, -v9
	v_mul_f16_sdwa v4, v5, v19 dst_sel:DWORD dst_unused:UNUSED_PAD src0_sel:WORD_1 src1_sel:DWORD
	v_fma_f16 v18, v5, v6, v4
	v_mul_f16_sdwa v4, v5, v6 dst_sel:DWORD dst_unused:UNUSED_PAD src0_sel:WORD_1 src1_sel:DWORD
	v_fma_f16 v19, v5, v19, -v4
	v_add_f16_e32 v5, v20, v18
	v_lshrrev_b32_e32 v16, 16, v8
	v_add_f16_e32 v4, v8, v20
	v_fma_f16 v6, v5, -0.5, v8
	v_sub_f16_e32 v8, v9, v19
	v_fma_f16 v5, v8, s0, v6
	v_fma_f16 v6, v8, s1, v6
	v_add_f16_e32 v8, v16, v9
	v_add_f16_e32 v9, v9, v19
	;; [unrolled: 1-line block ×3, first 2 shown]
	v_fma_f16 v16, v9, -0.5, v16
	v_sub_f16_e32 v18, v20, v18
	v_add_f16_e32 v8, v8, v19
	v_fma_f16 v9, v18, s1, v16
	v_fma_f16 v16, v18, s0, v16
	v_pack_b32_f16 v18, v4, v8
	v_pack_b32_f16 v19, v5, v9
	; wave barrier
	ds_write2_b32 v15, v18, v19 offset1:4
	v_pack_b32_f16 v18, v6, v16
	ds_write_b32 v15, v18 offset:32
	s_waitcnt lgkmcnt(0)
	; wave barrier
	s_waitcnt lgkmcnt(0)
	s_and_saveexec_b64 s[0:1], vcc
	s_cbranch_execz .LBB0_21
; %bb.20:
	ds_read2_b32 v[4:5], v13 offset1:12
	ds_read2_b32 v[6:7], v13 offset0:24 offset1:36
	s_waitcnt lgkmcnt(1)
	v_lshrrev_b32_e32 v8, 16, v4
	v_lshrrev_b32_e32 v9, 16, v5
	s_waitcnt lgkmcnt(0)
	v_lshrrev_b32_e32 v16, 16, v6
	v_lshrrev_b32_e32 v17, 16, v7
.LBB0_21:
	s_or_b64 exec, exec, s[0:1]
	s_and_saveexec_b64 s[0:1], vcc
	s_cbranch_execz .LBB0_23
; %bb.22:
	v_mul_f16_sdwa v15, v1, v16 dst_sel:DWORD dst_unused:UNUSED_PAD src0_sel:WORD_1 src1_sel:DWORD
	v_fma_f16 v15, v1, v6, v15
	v_mul_f16_sdwa v6, v1, v6 dst_sel:DWORD dst_unused:UNUSED_PAD src0_sel:WORD_1 src1_sel:DWORD
	v_mul_f16_sdwa v18, v0, v5 dst_sel:DWORD dst_unused:UNUSED_PAD src0_sel:WORD_1 src1_sel:DWORD
	v_fma_f16 v1, v1, v16, -v6
	v_mul_f16_sdwa v6, v0, v9 dst_sel:DWORD dst_unused:UNUSED_PAD src0_sel:WORD_1 src1_sel:DWORD
	v_fma_f16 v18, v0, v9, -v18
	v_mul_f16_sdwa v19, v2, v7 dst_sel:DWORD dst_unused:UNUSED_PAD src0_sel:WORD_1 src1_sel:DWORD
	v_fma_f16 v0, v0, v5, v6
	v_mul_f16_sdwa v5, v2, v17 dst_sel:DWORD dst_unused:UNUSED_PAD src0_sel:WORD_1 src1_sel:DWORD
	v_fma_f16 v19, v2, v17, -v19
	v_fma_f16 v2, v2, v7, v5
	v_sub_f16_e32 v15, v4, v15
	v_sub_f16_e32 v2, v0, v2
	;; [unrolled: 1-line block ×3, first 2 shown]
	v_fma_f16 v4, v4, 2.0, -v15
	v_fma_f16 v0, v0, 2.0, -v2
	v_sub_f16_e32 v19, v18, v19
	v_sub_f16_e32 v5, v1, v2
	;; [unrolled: 1-line block ×3, first 2 shown]
	v_fma_f16 v6, v1, 2.0, -v5
	v_fma_f16 v2, v4, 2.0, -v0
	;; [unrolled: 1-line block ×4, first 2 shown]
	v_sub_f16_e32 v4, v1, v4
	v_add_f16_e32 v20, v15, v19
	v_fma_f16 v1, v1, 2.0, -v4
	v_fma_f16 v21, v15, 2.0, -v20
	v_pack_b32_f16 v1, v2, v1
	ds_write_b32 v13, v1
	v_lshl_add_u32 v1, v10, 2, v14
	v_pack_b32_f16 v2, v21, v6
	v_pack_b32_f16 v0, v0, v4
	ds_write2_b32 v1, v2, v0 offset0:12 offset1:24
	v_pack_b32_f16 v0, v20, v5
	ds_write_b32 v1, v0 offset:144
.LBB0_23:
	s_or_b64 exec, exec, s[0:1]
	s_waitcnt lgkmcnt(0)
	; wave barrier
	s_waitcnt lgkmcnt(0)
	s_and_b64 exec, exec, vcc
	s_cbranch_execz .LBB0_25
; %bb.24:
	global_load_dword v14, v11, s[12:13]
	global_load_dword v15, v11, s[12:13] offset:48
	v_mad_u64_u32 v[1:2], s[0:1], s10, v3, 0
	v_lshl_add_u32 v8, v12, 2, v11
	global_load_dword v17, v11, s[12:13] offset:96
	global_load_dword v18, v11, s[12:13] offset:144
	ds_read2_b32 v[6:7], v8 offset0:12 offset1:24
	ds_read_b32 v11, v13
	ds_read_b32 v19, v8 offset:144
	v_mad_u64_u32 v[4:5], s[0:1], s8, v10, 0
	v_mad_u64_u32 v[2:3], s[0:1], s11, v3, v[2:3]
	s_waitcnt lgkmcnt(1)
	v_lshrrev_b32_e32 v3, 16, v11
	v_mad_u64_u32 v[8:9], s[0:1], s9, v10, v[5:6]
	s_mov_b32 s14, 0x55555555
	s_mov_b32 s15, 0x3f955555
	v_lshrrev_b32_e32 v20, 16, v6
	s_movk_i32 s18, 0x1ff
	s_movk_i32 s17, 0xffe
	v_mov_b32_e32 v0, 0x7c00
	s_movk_i32 s16, 0x40f
	s_mov_b32 s10, 0x8000
	v_lshlrev_b64 v[1:2], 2, v[1:2]
	v_mov_b32_e32 v16, s7
	s_waitcnt vmcnt(3)
	v_mul_f16_sdwa v5, v3, v14 dst_sel:DWORD dst_unused:UNUSED_PAD src0_sel:DWORD src1_sel:WORD_1
	v_fma_f16 v5, v11, v14, v5
	v_mul_f16_sdwa v9, v11, v14 dst_sel:DWORD dst_unused:UNUSED_PAD src0_sel:DWORD src1_sel:WORD_1
	v_cvt_f32_f16_e32 v5, v5
	v_fma_f16 v3, v14, v3, -v9
	v_cvt_f32_f16_e32 v3, v3
	v_cvt_f64_f32_e32 v[9:10], v5
	v_mov_b32_e32 v5, v8
	v_cvt_f64_f32_e32 v[11:12], v3
	s_waitcnt vmcnt(2)
	v_mul_f16_sdwa v3, v20, v15 dst_sel:DWORD dst_unused:UNUSED_PAD src0_sel:DWORD src1_sel:WORD_1
	v_mul_f64 v[9:10], v[9:10], s[14:15]
	v_fma_f16 v3, v6, v15, v3
	v_mul_f64 v[11:12], v[11:12], s[14:15]
	v_cvt_f32_f16_e32 v3, v3
	v_mul_f16_sdwa v6, v6, v15 dst_sel:DWORD dst_unused:UNUSED_PAD src0_sel:DWORD src1_sel:WORD_1
	v_fma_f16 v6, v15, v20, -v6
	v_cvt_f32_f16_e32 v6, v6
	v_cvt_f64_f32_e32 v[13:14], v3
	v_and_or_b32 v3, v10, s18, v9
	v_cmp_ne_u32_e32 vcc, 0, v3
	v_and_or_b32 v11, v12, s18, v11
	v_lshrrev_b32_e32 v8, 8, v10
	v_bfe_u32 v9, v10, 20, 11
	v_cndmask_b32_e64 v3, 0, 1, vcc
	v_cmp_ne_u32_e32 vcc, 0, v11
	v_lshrrev_b32_e32 v21, 8, v12
	v_bfe_u32 v22, v12, 20, 11
	v_sub_u32_e32 v23, 0x3f1, v9
	v_cndmask_b32_e64 v11, 0, 1, vcc
	v_and_or_b32 v3, v8, s17, v3
	v_sub_u32_e32 v24, 0x3f1, v22
	v_med3_i32 v8, v23, 0, 13
	v_and_or_b32 v11, v21, s17, v11
	v_or_b32_e32 v23, 0x1000, v3
	v_add_u32_e32 v9, 0xfffffc10, v9
	v_med3_i32 v21, v24, 0, 13
	v_cmp_ne_u32_e32 vcc, 0, v3
	v_or_b32_e32 v25, 0x1000, v11
	v_lshrrev_b32_e32 v27, v8, v23
	v_add_u32_e32 v22, 0xfffffc10, v22
	v_lshl_or_b32 v24, v9, 12, v3
	v_cndmask_b32_e64 v3, 0, 1, vcc
	v_cmp_ne_u32_e32 vcc, 0, v11
	v_lshrrev_b32_e32 v28, v21, v25
	v_lshlrev_b32_e32 v8, v8, v27
	v_lshl_or_b32 v26, v22, 12, v11
	v_cndmask_b32_e64 v11, 0, 1, vcc
	v_lshlrev_b32_e32 v21, v21, v28
	v_cmp_ne_u32_e32 vcc, v8, v23
	v_cndmask_b32_e64 v8, 0, 1, vcc
	v_cmp_ne_u32_e32 vcc, v21, v25
	v_cndmask_b32_e64 v21, 0, 1, vcc
	v_or_b32_e32 v8, v27, v8
	v_cmp_gt_i32_e32 vcc, 1, v9
	v_cndmask_b32_e32 v8, v24, v8, vcc
	v_or_b32_e32 v21, v28, v21
	v_cmp_gt_i32_e32 vcc, 1, v22
	v_and_b32_e32 v23, 7, v8
	v_cndmask_b32_e32 v21, v26, v21, vcc
	v_cmp_lt_i32_e32 vcc, 5, v23
	v_cmp_eq_u32_e64 s[0:1], 3, v23
	v_lshrrev_b32_e32 v8, 2, v8
	v_and_b32_e32 v24, 7, v21
	s_or_b64 vcc, s[0:1], vcc
	v_cmp_lt_i32_e64 s[2:3], 5, v24
	v_cmp_eq_u32_e64 s[4:5], 3, v24
	v_addc_co_u32_e32 v8, vcc, 0, v8, vcc
	v_lshrrev_b32_e32 v21, 2, v21
	s_or_b64 vcc, s[4:5], s[2:3]
	v_addc_co_u32_e32 v21, vcc, 0, v21, vcc
	v_cmp_gt_i32_e32 vcc, 31, v9
	v_cndmask_b32_e32 v8, v0, v8, vcc
	v_cmp_gt_i32_e32 vcc, 31, v22
	v_lshl_or_b32 v3, v3, 9, v0
	v_cndmask_b32_e32 v21, v0, v21, vcc
	v_cmp_eq_u32_e32 vcc, s16, v9
	v_lshrrev_b32_e32 v10, 16, v10
	v_lshl_or_b32 v11, v11, 9, v0
	v_cndmask_b32_e32 v3, v8, v3, vcc
	v_cmp_eq_u32_e32 vcc, s16, v22
	v_lshrrev_b32_e32 v12, 16, v12
	v_cndmask_b32_e32 v8, v21, v11, vcc
	v_and_or_b32 v3, v10, s10, v3
	v_and_or_b32 v8, v12, s10, v8
	v_and_b32_e32 v3, 0xffff, v3
	v_lshl_or_b32 v3, v8, 16, v3
	v_mul_f64 v[8:9], v[13:14], s[14:15]
	v_add_co_u32_e32 v10, vcc, s6, v1
	v_addc_co_u32_e32 v11, vcc, v16, v2, vcc
	v_lshlrev_b64 v[1:2], 2, v[4:5]
	s_mul_i32 s3, s8, 48
	v_add_co_u32_e32 v1, vcc, v10, v1
	v_addc_co_u32_e32 v2, vcc, v11, v2, vcc
	global_store_dword v[1:2], v3, off
	v_and_or_b32 v3, v9, s18, v8
	v_cmp_ne_u32_e32 vcc, 0, v3
	v_cndmask_b32_e64 v3, 0, 1, vcc
	v_lshrrev_b32_e32 v4, 8, v9
	v_and_or_b32 v5, v4, s17, v3
	v_bfe_u32 v4, v9, 20, 11
	v_sub_u32_e32 v8, 0x3f1, v4
	v_or_b32_e32 v3, 0x1000, v5
	v_med3_i32 v8, v8, 0, 13
	v_lshrrev_b32_e32 v10, v8, v3
	v_lshlrev_b32_e32 v8, v8, v10
	v_cmp_ne_u32_e32 vcc, v8, v3
	v_cndmask_b32_e64 v3, 0, 1, vcc
	v_add_u32_e32 v8, 0xfffffc10, v4
	v_or_b32_e32 v3, v10, v3
	v_lshl_or_b32 v4, v8, 12, v5
	v_cmp_gt_i32_e32 vcc, 1, v8
	v_cndmask_b32_e32 v3, v4, v3, vcc
	v_and_b32_e32 v4, 7, v3
	v_cmp_lt_i32_e32 vcc, 5, v4
	v_cmp_eq_u32_e64 s[0:1], 3, v4
	v_lshrrev_b32_e32 v10, 2, v3
	v_cvt_f64_f32_e32 v[3:4], v6
	s_or_b64 vcc, s[0:1], vcc
	v_addc_co_u32_e32 v6, vcc, 0, v10, vcc
	v_mul_f64 v[3:4], v[3:4], s[14:15]
	v_cmp_gt_i32_e32 vcc, 31, v8
	v_cndmask_b32_e32 v6, v0, v6, vcc
	v_cmp_ne_u32_e32 vcc, 0, v5
	v_cndmask_b32_e64 v5, 0, 1, vcc
	v_lshl_or_b32 v5, v5, 9, v0
	v_cmp_eq_u32_e32 vcc, s16, v8
	v_cndmask_b32_e32 v5, v6, v5, vcc
	v_and_or_b32 v3, v4, s18, v3
	v_lshrrev_b32_e32 v6, 16, v9
	v_cmp_ne_u32_e32 vcc, 0, v3
	v_and_or_b32 v5, v6, s10, v5
	v_cndmask_b32_e64 v3, 0, 1, vcc
	v_lshrrev_b32_e32 v6, 8, v4
	v_bfe_u32 v8, v4, 20, 11
	v_and_or_b32 v3, v6, s17, v3
	v_sub_u32_e32 v9, 0x3f1, v8
	v_or_b32_e32 v6, 0x1000, v3
	v_med3_i32 v9, v9, 0, 13
	v_lshrrev_b32_e32 v10, v9, v6
	v_lshlrev_b32_e32 v9, v9, v10
	v_cmp_ne_u32_e32 vcc, v9, v6
	v_cndmask_b32_e64 v6, 0, 1, vcc
	v_add_u32_e32 v8, 0xfffffc10, v8
	v_or_b32_e32 v6, v10, v6
	v_lshl_or_b32 v9, v8, 12, v3
	v_cmp_gt_i32_e32 vcc, 1, v8
	v_cndmask_b32_e32 v6, v9, v6, vcc
	v_and_b32_e32 v9, 7, v6
	v_cmp_lt_i32_e32 vcc, 5, v9
	v_cmp_eq_u32_e64 s[0:1], 3, v9
	v_lshrrev_b32_e32 v6, 2, v6
	s_or_b64 vcc, s[0:1], vcc
	v_addc_co_u32_e32 v6, vcc, 0, v6, vcc
	v_cmp_gt_i32_e32 vcc, 31, v8
	v_cndmask_b32_e32 v6, v0, v6, vcc
	v_cmp_ne_u32_e32 vcc, 0, v3
	v_cndmask_b32_e64 v3, 0, 1, vcc
	v_lshl_or_b32 v3, v3, 9, v0
	v_cmp_eq_u32_e32 vcc, s16, v8
	v_cndmask_b32_e32 v3, v6, v3, vcc
	v_lshrrev_b32_e32 v6, 16, v7
	s_waitcnt vmcnt(2)
	v_mul_f16_sdwa v8, v6, v17 dst_sel:DWORD dst_unused:UNUSED_PAD src0_sel:DWORD src1_sel:WORD_1
	v_fma_f16 v8, v7, v17, v8
	v_cvt_f32_f16_e32 v8, v8
	v_lshrrev_b32_e32 v4, 16, v4
	v_and_or_b32 v3, v4, s10, v3
	v_and_b32_e32 v4, 0xffff, v5
	v_lshl_or_b32 v5, v3, 16, v4
	v_cvt_f64_f32_e32 v[3:4], v8
	s_mul_i32 s0, s9, 48
	s_mul_hi_u32 s1, s8, 48
	s_add_i32 s2, s1, s0
	v_mul_f64 v[3:4], v[3:4], s[14:15]
	v_mov_b32_e32 v8, s2
	v_add_co_u32_e32 v1, vcc, s3, v1
	v_addc_co_u32_e32 v2, vcc, v2, v8, vcc
	global_store_dword v[1:2], v5, off
	v_mul_f16_sdwa v7, v7, v17 dst_sel:DWORD dst_unused:UNUSED_PAD src0_sel:DWORD src1_sel:WORD_1
	v_and_or_b32 v3, v4, s18, v3
	v_cmp_ne_u32_e32 vcc, 0, v3
	v_cndmask_b32_e64 v3, 0, 1, vcc
	v_lshrrev_b32_e32 v5, 8, v4
	v_bfe_u32 v8, v4, 20, 11
	v_and_or_b32 v3, v5, s17, v3
	v_sub_u32_e32 v9, 0x3f1, v8
	v_or_b32_e32 v5, 0x1000, v3
	v_med3_i32 v9, v9, 0, 13
	v_lshrrev_b32_e32 v10, v9, v5
	v_lshlrev_b32_e32 v9, v9, v10
	v_fma_f16 v6, v17, v6, -v7
	v_cmp_ne_u32_e32 vcc, v9, v5
	v_cvt_f32_f16_e32 v6, v6
	v_cndmask_b32_e64 v5, 0, 1, vcc
	v_add_u32_e32 v8, 0xfffffc10, v8
	v_or_b32_e32 v5, v10, v5
	v_lshl_or_b32 v9, v8, 12, v3
	v_cmp_gt_i32_e32 vcc, 1, v8
	v_cndmask_b32_e32 v5, v9, v5, vcc
	v_and_b32_e32 v9, 7, v5
	v_lshrrev_b32_e32 v7, 2, v5
	v_cvt_f64_f32_e32 v[5:6], v6
	v_cmp_lt_i32_e32 vcc, 5, v9
	v_cmp_eq_u32_e64 s[0:1], 3, v9
	s_or_b64 vcc, s[0:1], vcc
	v_mul_f64 v[5:6], v[5:6], s[14:15]
	v_addc_co_u32_e32 v7, vcc, 0, v7, vcc
	v_cmp_gt_i32_e32 vcc, 31, v8
	v_cndmask_b32_e32 v7, v0, v7, vcc
	v_cmp_ne_u32_e32 vcc, 0, v3
	v_cndmask_b32_e64 v3, 0, 1, vcc
	v_lshl_or_b32 v3, v3, 9, v0
	v_cmp_eq_u32_e32 vcc, s16, v8
	v_cndmask_b32_e32 v3, v7, v3, vcc
	v_lshrrev_b32_e32 v4, 16, v4
	v_and_or_b32 v7, v4, s10, v3
	v_and_or_b32 v3, v6, s18, v5
	v_cmp_ne_u32_e32 vcc, 0, v3
	v_cndmask_b32_e64 v3, 0, 1, vcc
	v_lshrrev_b32_e32 v4, 8, v6
	v_bfe_u32 v5, v6, 20, 11
	v_and_or_b32 v3, v4, s17, v3
	v_sub_u32_e32 v8, 0x3f1, v5
	v_or_b32_e32 v4, 0x1000, v3
	v_med3_i32 v8, v8, 0, 13
	v_lshrrev_b32_e32 v9, v8, v4
	v_lshlrev_b32_e32 v8, v8, v9
	v_cmp_ne_u32_e32 vcc, v8, v4
	v_cndmask_b32_e64 v4, 0, 1, vcc
	v_add_u32_e32 v5, 0xfffffc10, v5
	v_or_b32_e32 v4, v9, v4
	v_lshl_or_b32 v8, v5, 12, v3
	v_cmp_gt_i32_e32 vcc, 1, v5
	v_cndmask_b32_e32 v4, v8, v4, vcc
	v_and_b32_e32 v8, 7, v4
	v_cmp_lt_i32_e32 vcc, 5, v8
	v_cmp_eq_u32_e64 s[0:1], 3, v8
	s_waitcnt lgkmcnt(0)
	v_lshrrev_b32_e32 v8, 16, v19
	v_lshrrev_b32_e32 v4, 2, v4
	s_or_b64 vcc, s[0:1], vcc
	s_waitcnt vmcnt(2)
	v_mul_f16_sdwa v9, v8, v18 dst_sel:DWORD dst_unused:UNUSED_PAD src0_sel:DWORD src1_sel:WORD_1
	v_addc_co_u32_e32 v4, vcc, 0, v4, vcc
	v_fma_f16 v9, v19, v18, v9
	v_cmp_gt_i32_e32 vcc, 31, v5
	v_cvt_f32_f16_e32 v9, v9
	v_cndmask_b32_e32 v4, v0, v4, vcc
	v_cmp_ne_u32_e32 vcc, 0, v3
	v_cndmask_b32_e64 v3, 0, 1, vcc
	v_lshl_or_b32 v3, v3, 9, v0
	v_cmp_eq_u32_e32 vcc, s16, v5
	v_cndmask_b32_e32 v5, v4, v3, vcc
	v_cvt_f64_f32_e32 v[3:4], v9
	v_lshrrev_b32_e32 v6, 16, v6
	v_and_or_b32 v5, v6, s10, v5
	v_and_b32_e32 v6, 0xffff, v7
	v_mul_f64 v[3:4], v[3:4], s[14:15]
	v_lshl_or_b32 v5, v5, 16, v6
	v_mov_b32_e32 v6, s2
	v_add_co_u32_e32 v1, vcc, s3, v1
	v_addc_co_u32_e32 v2, vcc, v2, v6, vcc
	global_store_dword v[1:2], v5, off
	v_and_or_b32 v3, v4, s18, v3
	v_cmp_ne_u32_e32 vcc, 0, v3
	v_cndmask_b32_e64 v3, 0, 1, vcc
	v_lshrrev_b32_e32 v5, 8, v4
	v_bfe_u32 v6, v4, 20, 11
	v_and_or_b32 v3, v5, s17, v3
	v_sub_u32_e32 v7, 0x3f1, v6
	v_or_b32_e32 v5, 0x1000, v3
	v_med3_i32 v7, v7, 0, 13
	v_lshrrev_b32_e32 v9, v7, v5
	v_lshlrev_b32_e32 v7, v7, v9
	v_cmp_ne_u32_e32 vcc, v7, v5
	v_cndmask_b32_e64 v5, 0, 1, vcc
	v_or_b32_e32 v5, v9, v5
	v_mul_f16_sdwa v9, v19, v18 dst_sel:DWORD dst_unused:UNUSED_PAD src0_sel:DWORD src1_sel:WORD_1
	v_fma_f16 v8, v18, v8, -v9
	v_add_u32_e32 v7, 0xfffffc10, v6
	v_cvt_f32_f16_e32 v8, v8
	v_lshl_or_b32 v6, v7, 12, v3
	v_cmp_gt_i32_e32 vcc, 1, v7
	v_cndmask_b32_e32 v5, v6, v5, vcc
	v_and_b32_e32 v6, 7, v5
	v_cmp_lt_i32_e32 vcc, 5, v6
	v_cmp_eq_u32_e64 s[0:1], 3, v6
	v_lshrrev_b32_e32 v9, 2, v5
	v_cvt_f64_f32_e32 v[5:6], v8
	s_or_b64 vcc, s[0:1], vcc
	v_addc_co_u32_e32 v8, vcc, 0, v9, vcc
	v_mul_f64 v[5:6], v[5:6], s[14:15]
	v_cmp_gt_i32_e32 vcc, 31, v7
	v_cndmask_b32_e32 v8, v0, v8, vcc
	v_cmp_ne_u32_e32 vcc, 0, v3
	v_cndmask_b32_e64 v3, 0, 1, vcc
	v_lshl_or_b32 v3, v3, 9, v0
	v_cmp_eq_u32_e32 vcc, s16, v7
	v_cndmask_b32_e32 v3, v8, v3, vcc
	v_lshrrev_b32_e32 v4, 16, v4
	v_and_or_b32 v3, v4, s10, v3
	v_and_or_b32 v4, v6, s18, v5
	v_cmp_ne_u32_e32 vcc, 0, v4
	v_cndmask_b32_e64 v4, 0, 1, vcc
	v_lshrrev_b32_e32 v5, 8, v6
	v_bfe_u32 v7, v6, 20, 11
	v_and_or_b32 v4, v5, s17, v4
	v_sub_u32_e32 v8, 0x3f1, v7
	v_or_b32_e32 v5, 0x1000, v4
	v_med3_i32 v8, v8, 0, 13
	v_lshrrev_b32_e32 v9, v8, v5
	v_lshlrev_b32_e32 v8, v8, v9
	v_cmp_ne_u32_e32 vcc, v8, v5
	v_cndmask_b32_e64 v5, 0, 1, vcc
	v_add_u32_e32 v7, 0xfffffc10, v7
	v_or_b32_e32 v5, v9, v5
	v_lshl_or_b32 v8, v7, 12, v4
	v_cmp_gt_i32_e32 vcc, 1, v7
	v_cndmask_b32_e32 v5, v8, v5, vcc
	v_and_b32_e32 v8, 7, v5
	v_cmp_lt_i32_e32 vcc, 5, v8
	v_cmp_eq_u32_e64 s[0:1], 3, v8
	v_lshrrev_b32_e32 v5, 2, v5
	s_or_b64 vcc, s[0:1], vcc
	v_addc_co_u32_e32 v5, vcc, 0, v5, vcc
	v_cmp_gt_i32_e32 vcc, 31, v7
	v_cndmask_b32_e32 v5, v0, v5, vcc
	v_cmp_ne_u32_e32 vcc, 0, v4
	v_cndmask_b32_e64 v4, 0, 1, vcc
	v_lshl_or_b32 v0, v4, 9, v0
	v_cmp_eq_u32_e32 vcc, s16, v7
	v_cndmask_b32_e32 v0, v5, v0, vcc
	v_lshrrev_b32_e32 v4, 16, v6
	v_and_or_b32 v0, v4, s10, v0
	v_and_b32_e32 v3, 0xffff, v3
	v_lshl_or_b32 v3, v0, 16, v3
	v_mov_b32_e32 v4, s2
	v_add_co_u32_e32 v0, vcc, s3, v1
	v_addc_co_u32_e32 v1, vcc, v2, v4, vcc
	global_store_dword v[0:1], v3, off
.LBB0_25:
	s_endpgm
	.section	.rodata,"a",@progbits
	.p2align	6, 0x0
	.amdhsa_kernel bluestein_single_back_len48_dim1_half_op_CI_CI
		.amdhsa_group_segment_fixed_size 768
		.amdhsa_private_segment_fixed_size 0
		.amdhsa_kernarg_size 104
		.amdhsa_user_sgpr_count 6
		.amdhsa_user_sgpr_private_segment_buffer 1
		.amdhsa_user_sgpr_dispatch_ptr 0
		.amdhsa_user_sgpr_queue_ptr 0
		.amdhsa_user_sgpr_kernarg_segment_ptr 1
		.amdhsa_user_sgpr_dispatch_id 0
		.amdhsa_user_sgpr_flat_scratch_init 0
		.amdhsa_user_sgpr_private_segment_size 0
		.amdhsa_uses_dynamic_stack 0
		.amdhsa_system_sgpr_private_segment_wavefront_offset 0
		.amdhsa_system_sgpr_workgroup_id_x 1
		.amdhsa_system_sgpr_workgroup_id_y 0
		.amdhsa_system_sgpr_workgroup_id_z 0
		.amdhsa_system_sgpr_workgroup_info 0
		.amdhsa_system_vgpr_workitem_id 0
		.amdhsa_next_free_vgpr 34
		.amdhsa_next_free_sgpr 20
		.amdhsa_reserve_vcc 1
		.amdhsa_reserve_flat_scratch 0
		.amdhsa_float_round_mode_32 0
		.amdhsa_float_round_mode_16_64 0
		.amdhsa_float_denorm_mode_32 3
		.amdhsa_float_denorm_mode_16_64 3
		.amdhsa_dx10_clamp 1
		.amdhsa_ieee_mode 1
		.amdhsa_fp16_overflow 0
		.amdhsa_exception_fp_ieee_invalid_op 0
		.amdhsa_exception_fp_denorm_src 0
		.amdhsa_exception_fp_ieee_div_zero 0
		.amdhsa_exception_fp_ieee_overflow 0
		.amdhsa_exception_fp_ieee_underflow 0
		.amdhsa_exception_fp_ieee_inexact 0
		.amdhsa_exception_int_div_zero 0
	.end_amdhsa_kernel
	.text
.Lfunc_end0:
	.size	bluestein_single_back_len48_dim1_half_op_CI_CI, .Lfunc_end0-bluestein_single_back_len48_dim1_half_op_CI_CI
                                        ; -- End function
	.section	.AMDGPU.csdata,"",@progbits
; Kernel info:
; codeLenInByte = 4772
; NumSgprs: 24
; NumVgprs: 34
; ScratchSize: 0
; MemoryBound: 0
; FloatMode: 240
; IeeeMode: 1
; LDSByteSize: 768 bytes/workgroup (compile time only)
; SGPRBlocks: 2
; VGPRBlocks: 8
; NumSGPRsForWavesPerEU: 24
; NumVGPRsForWavesPerEU: 34
; Occupancy: 7
; WaveLimiterHint : 1
; COMPUTE_PGM_RSRC2:SCRATCH_EN: 0
; COMPUTE_PGM_RSRC2:USER_SGPR: 6
; COMPUTE_PGM_RSRC2:TRAP_HANDLER: 0
; COMPUTE_PGM_RSRC2:TGID_X_EN: 1
; COMPUTE_PGM_RSRC2:TGID_Y_EN: 0
; COMPUTE_PGM_RSRC2:TGID_Z_EN: 0
; COMPUTE_PGM_RSRC2:TIDIG_COMP_CNT: 0
	.type	__hip_cuid_46e460243f3530d8,@object ; @__hip_cuid_46e460243f3530d8
	.section	.bss,"aw",@nobits
	.globl	__hip_cuid_46e460243f3530d8
__hip_cuid_46e460243f3530d8:
	.byte	0                               ; 0x0
	.size	__hip_cuid_46e460243f3530d8, 1

	.ident	"AMD clang version 19.0.0git (https://github.com/RadeonOpenCompute/llvm-project roc-6.4.0 25133 c7fe45cf4b819c5991fe208aaa96edf142730f1d)"
	.section	".note.GNU-stack","",@progbits
	.addrsig
	.addrsig_sym __hip_cuid_46e460243f3530d8
	.amdgpu_metadata
---
amdhsa.kernels:
  - .args:
      - .actual_access:  read_only
        .address_space:  global
        .offset:         0
        .size:           8
        .value_kind:     global_buffer
      - .actual_access:  read_only
        .address_space:  global
        .offset:         8
        .size:           8
        .value_kind:     global_buffer
      - .actual_access:  read_only
        .address_space:  global
        .offset:         16
        .size:           8
        .value_kind:     global_buffer
      - .actual_access:  read_only
        .address_space:  global
        .offset:         24
        .size:           8
        .value_kind:     global_buffer
      - .actual_access:  read_only
        .address_space:  global
        .offset:         32
        .size:           8
        .value_kind:     global_buffer
      - .offset:         40
        .size:           8
        .value_kind:     by_value
      - .address_space:  global
        .offset:         48
        .size:           8
        .value_kind:     global_buffer
      - .address_space:  global
        .offset:         56
        .size:           8
        .value_kind:     global_buffer
      - .address_space:  global
        .offset:         64
        .size:           8
        .value_kind:     global_buffer
      - .address_space:  global
        .offset:         72
        .size:           8
        .value_kind:     global_buffer
      - .offset:         80
        .size:           4
        .value_kind:     by_value
      - .address_space:  global
        .offset:         88
        .size:           8
        .value_kind:     global_buffer
      - .address_space:  global
        .offset:         96
        .size:           8
        .value_kind:     global_buffer
    .group_segment_fixed_size: 768
    .kernarg_segment_align: 8
    .kernarg_segment_size: 104
    .language:       OpenCL C
    .language_version:
      - 2
      - 0
    .max_flat_workgroup_size: 64
    .name:           bluestein_single_back_len48_dim1_half_op_CI_CI
    .private_segment_fixed_size: 0
    .sgpr_count:     24
    .sgpr_spill_count: 0
    .symbol:         bluestein_single_back_len48_dim1_half_op_CI_CI.kd
    .uniform_work_group_size: 1
    .uses_dynamic_stack: false
    .vgpr_count:     34
    .vgpr_spill_count: 0
    .wavefront_size: 64
amdhsa.target:   amdgcn-amd-amdhsa--gfx906
amdhsa.version:
  - 1
  - 2
...

	.end_amdgpu_metadata
